;; amdgpu-corpus repo=zjin-lcf/HeCBench kind=compiled arch=gfx1100 opt=O3
	.text
	.amdgcn_target "amdgcn-amd-amdhsa--gfx1100"
	.amdhsa_code_object_version 6
	.protected	_Z13invkin_kernelPKfS0_Pfi ; -- Begin function _Z13invkin_kernelPKfS0_Pfi
	.globl	_Z13invkin_kernelPKfS0_Pfi
	.p2align	8
	.type	_Z13invkin_kernelPKfS0_Pfi,@function
_Z13invkin_kernelPKfS0_Pfi:             ; @_Z13invkin_kernelPKfS0_Pfi
; %bb.0:
	s_clause 0x1
	s_load_b32 s2, s[0:1], 0x20
	s_load_b32 s3, s[0:1], 0x2c
	v_bfe_u32 v1, v0, 10, 10
	s_load_b32 s4, s[0:1], 0x18
	v_and_b32_e32 v0, 0x3ff, v0
	s_waitcnt lgkmcnt(0)
	s_mul_i32 s2, s2, s15
	s_lshr_b32 s5, s3, 16
	s_add_i32 s2, s2, s14
	s_delay_alu instid0(SALU_CYCLE_1)
	v_mad_u64_u32 v[4:5], null, s2, s5, v[1:2]
	s_and_b32 s2, s3, 0xffff
	s_delay_alu instid0(VALU_DEP_1) | instid1(SALU_CYCLE_1)
	v_mad_u64_u32 v[2:3], null, v4, s2, v[0:1]
	s_mov_b32 s2, exec_lo
	s_delay_alu instid0(VALU_DEP_1)
	v_cmpx_gt_i32_e64 s4, v2
	s_cbranch_execz .LBB0_4
; %bb.1:
	s_clause 0x1
	s_load_b128 s[8:11], s[0:1], 0x0
	s_load_b64 s[6:7], s[0:1], 0x10
	v_ashrrev_i32_e32 v3, 31, v2
	s_delay_alu instid0(VALU_DEP_1) | instskip(SKIP_1) | instid1(VALU_DEP_1)
	v_lshlrev_b64 v[0:1], 2, v[2:3]
	s_waitcnt lgkmcnt(0)
	v_add_co_u32 v3, vcc_lo, s8, v0
	s_delay_alu instid0(VALU_DEP_2)
	v_add_co_ci_u32_e32 v4, vcc_lo, s9, v1, vcc_lo
	v_add_co_u32 v0, vcc_lo, s10, v0
	v_add_co_ci_u32_e32 v1, vcc_lo, s11, v1, vcc_lo
	global_load_b32 v3, v[3:4], off
	global_load_b32 v0, v[0:1], off
	s_waitcnt vmcnt(0)
	v_dual_add_f32 v1, -2.0, v3 :: v_dual_mul_f32 v4, v0, v0
	s_delay_alu instid0(VALU_DEP_1) | instskip(NEXT) | instid1(VALU_DEP_1)
	v_fma_f32 v6, v1, v1, v4
	v_dual_add_f32 v5, -1.0, v3 :: v_dual_mul_f32 v8, 0x4f800000, v6
	v_cmp_gt_f32_e32 vcc_lo, 0xf800000, v6
	s_delay_alu instid0(VALU_DEP_2) | instskip(NEXT) | instid1(VALU_DEP_3)
	v_fma_f32 v7, v5, v5, v4
	v_cndmask_b32_e32 v6, v6, v8, vcc_lo
	s_delay_alu instid0(VALU_DEP_2) | instskip(NEXT) | instid1(VALU_DEP_2)
	v_cmp_gt_f32_e64 s0, 0xf800000, v7
	v_sqrt_f32_e32 v8, v6
	s_waitcnt_depctr 0xfff
	v_dual_fmac_f32 v4, v3, v3 :: v_dual_add_nc_u32 v11, -1, v8
	s_delay_alu instid0(VALU_DEP_1) | instskip(SKIP_2) | instid1(VALU_DEP_3)
	v_dual_mul_f32 v9, 0x4f800000, v7 :: v_dual_mul_f32 v10, 0x4f800000, v4
	v_cmp_gt_f32_e64 s1, 0xf800000, v4
	v_add_nc_u32_e32 v12, 1, v8
	v_cndmask_b32_e64 v7, v7, v9, s0
	s_delay_alu instid0(VALU_DEP_3) | instskip(NEXT) | instid1(VALU_DEP_2)
	v_cndmask_b32_e64 v4, v4, v10, s1
	v_sqrt_f32_e32 v9, v7
	s_delay_alu instid0(VALU_DEP_1)
	v_sqrt_f32_e32 v10, v4
	s_waitcnt_depctr 0xfff
	v_add_nc_u32_e32 v13, -1, v9
	v_fma_f32 v17, -v11, v8, v6
	v_add_nc_u32_e32 v15, -1, v10
	v_add_nc_u32_e32 v14, 1, v9
	v_fma_f32 v18, -v12, v8, v6
	v_fma_f32 v19, -v13, v9, v7
	v_cmp_ge_f32_e64 s2, 0, v17
	v_fma_f32 v21, -v15, v10, v4
	v_add_nc_u32_e32 v16, 1, v10
	v_fma_f32 v20, -v14, v9, v7
	s_delay_alu instid0(VALU_DEP_4) | instskip(SKIP_1) | instid1(VALU_DEP_4)
	v_cndmask_b32_e64 v8, v8, v11, s2
	v_cmp_ge_f32_e64 s2, 0, v19
	v_fma_f32 v22, -v16, v10, v4
	s_delay_alu instid0(VALU_DEP_2) | instskip(SKIP_1) | instid1(VALU_DEP_1)
	v_cndmask_b32_e64 v9, v9, v13, s2
	v_cmp_ge_f32_e64 s2, 0, v21
	v_cndmask_b32_e64 v10, v10, v15, s2
	v_cmp_lt_f32_e64 s2, 0, v18
	s_delay_alu instid0(VALU_DEP_1) | instskip(SKIP_1) | instid1(VALU_DEP_2)
	v_cndmask_b32_e64 v8, v8, v12, s2
	v_cmp_lt_f32_e64 s2, 0, v20
	v_mul_f32_e32 v11, 0x37800000, v8
	s_delay_alu instid0(VALU_DEP_2) | instskip(SKIP_1) | instid1(VALU_DEP_3)
	v_cndmask_b32_e64 v9, v9, v14, s2
	v_cmp_lt_f32_e64 s2, 0, v22
	v_cndmask_b32_e32 v8, v8, v11, vcc_lo
	s_delay_alu instid0(VALU_DEP_3) | instskip(SKIP_1) | instid1(VALU_DEP_2)
	v_mul_f32_e32 v12, 0x37800000, v9
	v_cmp_class_f32_e64 vcc_lo, v6, 0x260
	v_cndmask_b32_e64 v9, v9, v12, s0
	s_delay_alu instid0(VALU_DEP_4) | instskip(SKIP_1) | instid1(VALU_DEP_3)
	v_cndmask_b32_e32 v6, v8, v6, vcc_lo
	v_cmp_class_f32_e64 vcc_lo, v7, 0x260
	v_cndmask_b32_e32 v7, v9, v7, vcc_lo
	v_cndmask_b32_e64 v10, v10, v16, s2
	v_cmp_class_f32_e64 vcc_lo, v4, 0x260
	s_delay_alu instid0(VALU_DEP_3) | instskip(NEXT) | instid1(VALU_DEP_3)
	v_div_scale_f32 v14, null, v7, v7, v0
	v_mul_f32_e32 v13, 0x37800000, v10
	v_div_scale_f32 v12, null, v7, v7, v5
	s_delay_alu instid0(VALU_DEP_3) | instskip(SKIP_1) | instid1(VALU_DEP_3)
	v_rcp_f32_e32 v21, v14
	v_div_scale_f32 v15, s2, v0, v7, v0
	v_cndmask_b32_e64 v10, v10, v13, s1
	s_delay_alu instid0(VALU_DEP_3) | instskip(SKIP_1) | instid1(VALU_DEP_2)
	v_rcp_f32_e32 v20, v12
	v_div_scale_f32 v13, s1, v5, v7, v5
	v_cndmask_b32_e32 v4, v10, v4, vcc_lo
	v_div_scale_f32 v10, null, v6, v6, v0
	s_delay_alu instid0(TRANS32_DEP_2) | instskip(NEXT) | instid1(VALU_DEP_3)
	v_fma_f32 v29, -v14, v21, 1.0
	v_div_scale_f32 v17, null, v4, v4, v0
	s_delay_alu instid0(VALU_DEP_3) | instskip(NEXT) | instid1(TRANS32_DEP_2)
	v_rcp_f32_e32 v19, v10
	v_fma_f32 v28, -v12, v20, 1.0
	s_delay_alu instid0(VALU_DEP_3) | instskip(NEXT) | instid1(VALU_DEP_3)
	v_fmac_f32_e32 v21, v29, v21
	v_rcp_f32_e32 v23, v17
	s_delay_alu instid0(VALU_DEP_1)
	v_dual_fmac_f32 v20, v28, v20 :: v_dual_mul_f32 v29, v15, v21
	s_waitcnt_depctr 0xfff
	v_fma_f32 v27, -v10, v19, 1.0
	v_mul_f32_e32 v28, v13, v20
	v_fma_f32 v35, -v14, v29, v15
	v_fma_f32 v31, -v17, v23, 1.0
	s_delay_alu instid0(VALU_DEP_4) | instskip(SKIP_1) | instid1(VALU_DEP_3)
	v_fmac_f32_e32 v19, v27, v19
	v_div_scale_f32 v8, null, v6, v6, v1
	v_fmac_f32_e32 v23, v31, v23
	v_div_scale_f32 v16, null, v4, v4, v3
	s_delay_alu instid0(VALU_DEP_3) | instskip(SKIP_1) | instid1(VALU_DEP_2)
	v_rcp_f32_e32 v18, v8
	v_div_scale_f32 v9, vcc_lo, v1, v6, v1
	v_rcp_f32_e32 v22, v16
	v_div_scale_f32 v11, s0, v0, v6, v0
	v_div_scale_f32 v25, s4, v0, v4, v0
	v_fmac_f32_e32 v29, v35, v21
	s_delay_alu instid0(VALU_DEP_3) | instskip(NEXT) | instid1(TRANS32_DEP_2)
	v_mul_f32_e32 v27, v11, v19
	v_fma_f32 v26, -v8, v18, 1.0
	s_delay_alu instid0(VALU_DEP_4) | instskip(SKIP_1) | instid1(TRANS32_DEP_1)
	v_mul_f32_e32 v31, v25, v23
	v_div_scale_f32 v24, s3, v3, v4, v3
	v_fma_f32 v30, -v16, v22, 1.0
	s_delay_alu instid0(VALU_DEP_4)
	v_fmac_f32_e32 v18, v26, v18
	v_fma_f32 v33, -v10, v27, v11
	v_fma_f32 v34, -v12, v28, v13
	v_fma_f32 v37, -v17, v31, v25
	v_fmac_f32_e32 v22, v30, v22
	v_mul_f32_e32 v26, v9, v18
	s_delay_alu instid0(VALU_DEP_4) | instskip(NEXT) | instid1(VALU_DEP_3)
	v_dual_fmac_f32 v27, v33, v19 :: v_dual_fmac_f32 v28, v34, v20
	v_dual_fmac_f32 v31, v37, v23 :: v_dual_mul_f32 v30, v24, v22
	s_delay_alu instid0(VALU_DEP_3) | instskip(NEXT) | instid1(VALU_DEP_2)
	v_fma_f32 v32, -v8, v26, v9
	v_fma_f32 v36, -v16, v30, v24
	s_delay_alu instid0(VALU_DEP_2) | instskip(NEXT) | instid1(VALU_DEP_1)
	v_fmac_f32_e32 v26, v32, v18
	v_fma_f32 v8, -v8, v26, v9
	v_fma_f32 v9, -v10, v27, v11
	;; [unrolled: 1-line block ×5, first 2 shown]
	v_div_fmas_f32 v8, v8, v18, v26
	s_mov_b32 vcc_lo, s0
	v_div_fmas_f32 v9, v9, v19, v27
	s_mov_b32 vcc_lo, s1
	s_delay_alu instid0(VALU_DEP_2)
	v_div_fixup_f32 v1, v8, v6, v1
	v_div_fmas_f32 v10, v10, v20, v28
	s_mov_b32 vcc_lo, s2
	v_div_fixup_f32 v6, v9, v6, v0
	v_div_fmas_f32 v8, v11, v21, v29
	s_mov_b32 vcc_lo, s3
	s_mov_b32 s3, 0x3d1c21a7
	v_fmac_f32_e32 v30, v36, v22
	v_div_fixup_f32 v5, v10, v7, v5
	v_div_fixup_f32 v7, v8, v7, v0
	v_fma_f32 v8, 0, v6, v1
	v_mul_f32_e32 v1, 0, v1
	v_fma_f32 v12, -v16, v30, v24
	s_delay_alu instid0(VALU_DEP_3) | instskip(NEXT) | instid1(VALU_DEP_2)
	v_cmp_lt_f32_e64 s0, 1.0, v8
	v_div_fmas_f32 v9, v12, v22, v30
	s_mov_b32 vcc_lo, s4
	v_div_fmas_f32 v10, v13, v23, v31
	v_cmp_gt_f32_e32 vcc_lo, -1.0, v8
	s_delay_alu instid0(VALU_DEP_3) | instskip(SKIP_4) | instid1(VALU_DEP_4)
	v_div_fixup_f32 v9, v9, v4, v3
	v_fma_f32 v3, 0, v7, v5
	v_mul_f32_e32 v5, 0, v5
	v_div_fixup_f32 v0, v10, v4, v0
	v_cndmask_b32_e64 v4, v8, -1.0, vcc_lo
	v_cmp_gt_f32_e64 s1, -1.0, v3
	v_cmp_lt_f32_e64 s2, 1.0, v3
	s_delay_alu instid0(VALU_DEP_4) | instskip(NEXT) | instid1(VALU_DEP_4)
	v_fma_f32 v10, 0, v0, v9
	v_cndmask_b32_e64 v4, v4, 1.0, s0
	s_or_b32 s0, s0, vcc_lo
	v_cndmask_b32_e64 v11, v3, -1.0, s1
	v_cndmask_b32_e64 v8, |v8|, 1.0, s0
	v_cmp_gt_f32_e32 vcc_lo, -1.0, v10
	v_cmp_lt_f32_e64 s0, 1.0, v10
	s_or_b32 s1, s2, s1
	v_cndmask_b32_e64 v11, v11, 1.0, s2
	v_cndmask_b32_e64 v3, |v3|, 1.0, s1
	v_cndmask_b32_e64 v12, v10, -1.0, vcc_lo
	v_fma_f32 v13, v8, -0.5, 0.5
	v_cmp_gt_f32_e64 s2, 0, v4
	v_mul_f32_e32 v16, v11, v11
	v_fma_f32 v15, v3, -0.5, 0.5
	v_cndmask_b32_e64 v12, v12, 1.0, s0
	s_or_b32 s0, s0, vcc_lo
	v_cmp_lt_f32_e32 vcc_lo, 0.5, v8
	v_cndmask_b32_e64 v10, |v10|, 1.0, s0
	v_cmp_lt_f32_e64 s0, 0.5, v3
	s_delay_alu instid0(VALU_DEP_2) | instskip(NEXT) | instid1(VALU_DEP_2)
	v_cmp_lt_f32_e64 s1, 0.5, v10
	v_cndmask_b32_e64 v3, v16, v15, s0
	v_mul_f32_e32 v14, v4, v4
	s_delay_alu instid0(VALU_DEP_2) | instskip(NEXT) | instid1(VALU_DEP_1)
	v_sqrt_f32_e32 v17, v3
	v_cndmask_b32_e32 v8, v14, v13, vcc_lo
	v_fma_f32 v13, v10, -0.5, 0.5
	v_mul_f32_e32 v14, v12, v12
	s_delay_alu instid0(VALU_DEP_1) | instskip(SKIP_1) | instid1(VALU_DEP_1)
	v_cndmask_b32_e64 v10, v14, v13, s1
	v_fmaak_f32 v13, s3, v3, 0x3c5fc5da
	v_fmaak_f32 v13, v3, v13, 0x3d034c3c
	s_delay_alu instid0(VALU_DEP_1) | instskip(NEXT) | instid1(VALU_DEP_1)
	v_fmaak_f32 v13, v3, v13, 0x3d3641b1
	v_fmaak_f32 v13, v3, v13, 0x3d999bc8
	s_delay_alu instid0(VALU_DEP_1) | instskip(NEXT) | instid1(VALU_DEP_1)
	v_fmaak_f32 v13, v3, v13, 0x3e2aaaac
	v_mul_f32_e32 v3, v3, v13
	s_delay_alu instid0(VALU_DEP_1) | instskip(SKIP_2) | instid1(VALU_DEP_1)
	v_fmac_f32_e32 v17, v17, v3
	v_fmaak_f32 v15, s3, v8, 0x3c5fc5da
	v_sqrt_f32_e32 v16, v8
	v_fmaak_f32 v14, v8, v15, 0x3d034c3c
	v_fmaak_f32 v15, s3, v10, 0x3c5fc5da
	v_cmp_gt_f32_e64 s3, 0, v11
	v_fmac_f32_e32 v11, v11, v3
	v_mov_b32_e32 v3, 0
	s_delay_alu instid0(VALU_DEP_4) | instskip(SKIP_1) | instid1(VALU_DEP_4)
	v_fmaak_f32 v15, v10, v15, 0x3d034c3c
	v_fmaak_f32 v14, v8, v14, 0x3d3641b1
	v_sub_f32_e32 v11, 0x3fc90fdb, v11
	s_delay_alu instid0(VALU_DEP_3) | instskip(NEXT) | instid1(VALU_DEP_1)
	v_fmaak_f32 v15, v10, v15, 0x3d3641b1
	v_dual_fmaak_f32 v14, v8, v14, 0x3d999bc8 :: v_dual_fmaak_f32 v15, v10, v15, 0x3d999bc8
	s_delay_alu instid0(VALU_DEP_1) | instskip(NEXT) | instid1(VALU_DEP_1)
	v_dual_fmaak_f32 v14, v8, v14, 0x3e2aaaac :: v_dual_fmaak_f32 v15, v10, v15, 0x3e2aaaac
	v_mul_f32_e32 v8, v8, v14
	v_sqrt_f32_e32 v14, v10
	s_delay_alu instid0(VALU_DEP_2) | instskip(NEXT) | instid1(VALU_DEP_2)
	v_mul_f32_e32 v10, v10, v15
	v_fmac_f32_e32 v16, v16, v8
	v_dual_fmac_f32 v4, v4, v8 :: v_dual_add_f32 v15, v17, v17
	s_waitcnt_depctr 0xfff
	v_dual_fmac_f32 v14, v14, v10 :: v_dual_add_f32 v13, v16, v16
	v_sub_f32_e32 v4, 0x3fc90fdb, v4
	s_delay_alu instid0(VALU_DEP_2) | instskip(NEXT) | instid1(VALU_DEP_3)
	v_add_f32_e32 v8, v14, v14
	v_sub_f32_e32 v16, 0x40490fdb, v13
	v_sub_f32_e32 v14, 0x40490fdb, v15
	s_delay_alu instid0(VALU_DEP_2) | instskip(NEXT) | instid1(VALU_DEP_4)
	v_cndmask_b32_e64 v13, v13, v16, s2
	v_sub_f32_e32 v16, 0x40490fdb, v8
	v_cmp_gt_f32_e64 s2, 0, v12
	v_fmac_f32_e32 v12, v12, v10
	v_cndmask_b32_e64 v10, v15, v14, s3
	v_cndmask_b32_e32 v4, v4, v13, vcc_lo
	v_cmp_lt_f32_e32 vcc_lo, v6, v1
	v_cndmask_b32_e64 v8, v8, v16, s2
	v_sub_f32_e32 v12, 0x3fc90fdb, v12
	v_cndmask_b32_e64 v10, v11, v10, s0
	v_mul_f32_e32 v4, 0x42652ee0, v4
	s_delay_alu instid0(VALU_DEP_3) | instskip(NEXT) | instid1(VALU_DEP_3)
	v_cndmask_b32_e64 v8, v12, v8, s1
	v_mul_f32_e32 v10, 0x42652ee0, v10
	s_delay_alu instid0(VALU_DEP_3) | instskip(SKIP_3) | instid1(VALU_DEP_3)
	v_cndmask_b32_e64 v1, v4, -v4, vcc_lo
	v_mul_f32_e32 v4, 0, v9
	v_cmp_lt_f32_e32 vcc_lo, v7, v5
	v_mul_f32_e32 v6, 0x42652ee0, v8
	v_cmp_lt_f32_e64 s0, v0, v4
	v_cndmask_b32_e64 v5, v10, -v10, vcc_lo
	v_cmp_ngt_f32_e32 vcc_lo, 0xc1f00000, v1
	s_delay_alu instid0(VALU_DEP_3) | instskip(SKIP_1) | instid1(VALU_DEP_4)
	v_cndmask_b32_e64 v0, v6, -v6, s0
	v_cmp_lt_f32_e64 s0, 0x41f00000, v1
	v_cmp_lt_f32_e64 s2, 0x41f00000, v5
	v_cmp_ngt_f32_e64 s1, 0xc1f00000, v5
	s_delay_alu instid0(VALU_DEP_4) | instskip(NEXT) | instid1(VALU_DEP_4)
	v_cmp_lt_f32_e64 s4, 0x41f00000, v0
	v_cndmask_b32_e64 v1, v1, 0x41f00000, s0
	s_delay_alu instid0(VALU_DEP_4)
	v_cndmask_b32_e64 v5, v5, 0x41f00000, s2
	v_cmp_ngt_f32_e64 s3, 0xc1f00000, v0
	s_or_b32 vcc_lo, s0, vcc_lo
	v_cndmask_b32_e64 v0, v0, 0x41f00000, s4
	v_cndmask_b32_e32 v4, 0xc1f00000, v1, vcc_lo
	s_or_b32 vcc_lo, s2, s1
	v_mov_b32_e32 v1, 0
	v_cndmask_b32_e32 v5, 0xc1f00000, v5, vcc_lo
	s_or_b32 vcc_lo, s4, s3
	s_mov_b32 s0, 25
	v_cndmask_b32_e32 v0, 0xc1f00000, v0, vcc_lo
.LBB0_2:                                ; =>This Inner Loop Header: Depth=1
	s_delay_alu instid0(VALU_DEP_1) | instskip(SKIP_1) | instid1(VALU_DEP_2)
	v_dual_mov_b32 v7, v3 :: v_dual_mov_b32 v8, v1
	s_add_i32 s0, s0, -1
	v_mov_b32_e32 v3, v0
	s_cmp_lg_u32 s0, 0
	s_delay_alu instid0(VALU_DEP_2) | instskip(NEXT) | instid1(VALU_DEP_1)
	v_add_f32_e32 v6, v7, v5
	v_add_f32_e32 v1, v0, v6
	s_cbranch_scc1 .LBB0_2
; %bb.3:
	v_add_f32_e32 v3, v7, v8
	v_lshl_add_u32 v2, v2, 1, v2
	s_delay_alu instid0(VALU_DEP_2) | instskip(NEXT) | instid1(VALU_DEP_2)
	v_add_f32_e32 v4, v3, v4
	v_ashrrev_i32_e32 v3, 31, v2
	s_delay_alu instid0(VALU_DEP_2) | instskip(NEXT) | instid1(VALU_DEP_2)
	v_add_f32_e32 v5, v6, v4
	v_lshlrev_b64 v[3:4], 2, v[2:3]
	s_delay_alu instid0(VALU_DEP_2) | instskip(NEXT) | instid1(VALU_DEP_2)
	v_add_f32_e32 v2, v1, v5
	v_add_co_u32 v3, vcc_lo, s6, v3
	s_delay_alu instid0(VALU_DEP_3)
	v_add_co_ci_u32_e32 v4, vcc_lo, s7, v4, vcc_lo
	global_store_b96 v[3:4], v[0:2], off
.LBB0_4:
	s_nop 0
	s_sendmsg sendmsg(MSG_DEALLOC_VGPRS)
	s_endpgm
	.section	.rodata,"a",@progbits
	.p2align	6, 0x0
	.amdhsa_kernel _Z13invkin_kernelPKfS0_Pfi
		.amdhsa_group_segment_fixed_size 0
		.amdhsa_private_segment_fixed_size 0
		.amdhsa_kernarg_size 288
		.amdhsa_user_sgpr_count 14
		.amdhsa_user_sgpr_dispatch_ptr 0
		.amdhsa_user_sgpr_queue_ptr 0
		.amdhsa_user_sgpr_kernarg_segment_ptr 1
		.amdhsa_user_sgpr_dispatch_id 0
		.amdhsa_user_sgpr_private_segment_size 0
		.amdhsa_wavefront_size32 1
		.amdhsa_uses_dynamic_stack 0
		.amdhsa_enable_private_segment 0
		.amdhsa_system_sgpr_workgroup_id_x 1
		.amdhsa_system_sgpr_workgroup_id_y 1
		.amdhsa_system_sgpr_workgroup_id_z 0
		.amdhsa_system_sgpr_workgroup_info 0
		.amdhsa_system_vgpr_workitem_id 1
		.amdhsa_next_free_vgpr 38
		.amdhsa_next_free_sgpr 16
		.amdhsa_reserve_vcc 1
		.amdhsa_float_round_mode_32 0
		.amdhsa_float_round_mode_16_64 0
		.amdhsa_float_denorm_mode_32 3
		.amdhsa_float_denorm_mode_16_64 3
		.amdhsa_dx10_clamp 1
		.amdhsa_ieee_mode 1
		.amdhsa_fp16_overflow 0
		.amdhsa_workgroup_processor_mode 1
		.amdhsa_memory_ordered 1
		.amdhsa_forward_progress 0
		.amdhsa_shared_vgpr_count 0
		.amdhsa_exception_fp_ieee_invalid_op 0
		.amdhsa_exception_fp_denorm_src 0
		.amdhsa_exception_fp_ieee_div_zero 0
		.amdhsa_exception_fp_ieee_overflow 0
		.amdhsa_exception_fp_ieee_underflow 0
		.amdhsa_exception_fp_ieee_inexact 0
		.amdhsa_exception_int_div_zero 0
	.end_amdhsa_kernel
	.text
.Lfunc_end0:
	.size	_Z13invkin_kernelPKfS0_Pfi, .Lfunc_end0-_Z13invkin_kernelPKfS0_Pfi
                                        ; -- End function
	.section	.AMDGPU.csdata,"",@progbits
; Kernel info:
; codeLenInByte = 2108
; NumSgprs: 18
; NumVgprs: 38
; ScratchSize: 0
; MemoryBound: 0
; FloatMode: 240
; IeeeMode: 1
; LDSByteSize: 0 bytes/workgroup (compile time only)
; SGPRBlocks: 2
; VGPRBlocks: 4
; NumSGPRsForWavesPerEU: 18
; NumVGPRsForWavesPerEU: 38
; Occupancy: 16
; WaveLimiterHint : 0
; COMPUTE_PGM_RSRC2:SCRATCH_EN: 0
; COMPUTE_PGM_RSRC2:USER_SGPR: 14
; COMPUTE_PGM_RSRC2:TRAP_HANDLER: 0
; COMPUTE_PGM_RSRC2:TGID_X_EN: 1
; COMPUTE_PGM_RSRC2:TGID_Y_EN: 1
; COMPUTE_PGM_RSRC2:TGID_Z_EN: 0
; COMPUTE_PGM_RSRC2:TIDIG_COMP_CNT: 1
	.text
	.p2alignl 7, 3214868480
	.fill 96, 4, 3214868480
	.type	__hip_cuid_658afbf96452297c,@object ; @__hip_cuid_658afbf96452297c
	.section	.bss,"aw",@nobits
	.globl	__hip_cuid_658afbf96452297c
__hip_cuid_658afbf96452297c:
	.byte	0                               ; 0x0
	.size	__hip_cuid_658afbf96452297c, 1

	.ident	"AMD clang version 19.0.0git (https://github.com/RadeonOpenCompute/llvm-project roc-6.4.0 25133 c7fe45cf4b819c5991fe208aaa96edf142730f1d)"
	.section	".note.GNU-stack","",@progbits
	.addrsig
	.addrsig_sym __hip_cuid_658afbf96452297c
	.amdgpu_metadata
---
amdhsa.kernels:
  - .args:
      - .actual_access:  read_only
        .address_space:  global
        .offset:         0
        .size:           8
        .value_kind:     global_buffer
      - .actual_access:  read_only
        .address_space:  global
        .offset:         8
        .size:           8
        .value_kind:     global_buffer
      - .actual_access:  write_only
        .address_space:  global
        .offset:         16
        .size:           8
        .value_kind:     global_buffer
      - .offset:         24
        .size:           4
        .value_kind:     by_value
      - .offset:         32
        .size:           4
        .value_kind:     hidden_block_count_x
      - .offset:         36
        .size:           4
        .value_kind:     hidden_block_count_y
      - .offset:         40
        .size:           4
        .value_kind:     hidden_block_count_z
      - .offset:         44
        .size:           2
        .value_kind:     hidden_group_size_x
      - .offset:         46
        .size:           2
        .value_kind:     hidden_group_size_y
      - .offset:         48
        .size:           2
        .value_kind:     hidden_group_size_z
      - .offset:         50
        .size:           2
        .value_kind:     hidden_remainder_x
      - .offset:         52
        .size:           2
        .value_kind:     hidden_remainder_y
      - .offset:         54
        .size:           2
        .value_kind:     hidden_remainder_z
      - .offset:         72
        .size:           8
        .value_kind:     hidden_global_offset_x
      - .offset:         80
        .size:           8
        .value_kind:     hidden_global_offset_y
      - .offset:         88
        .size:           8
        .value_kind:     hidden_global_offset_z
      - .offset:         96
        .size:           2
        .value_kind:     hidden_grid_dims
    .group_segment_fixed_size: 0
    .kernarg_segment_align: 8
    .kernarg_segment_size: 288
    .language:       OpenCL C
    .language_version:
      - 2
      - 0
    .max_flat_workgroup_size: 1024
    .name:           _Z13invkin_kernelPKfS0_Pfi
    .private_segment_fixed_size: 0
    .sgpr_count:     18
    .sgpr_spill_count: 0
    .symbol:         _Z13invkin_kernelPKfS0_Pfi.kd
    .uniform_work_group_size: 1
    .uses_dynamic_stack: false
    .vgpr_count:     38
    .vgpr_spill_count: 0
    .wavefront_size: 32
    .workgroup_processor_mode: 1
amdhsa.target:   amdgcn-amd-amdhsa--gfx1100
amdhsa.version:
  - 1
  - 2
...

	.end_amdgpu_metadata
